;; amdgpu-corpus repo=zjin-lcf/HeCBench kind=compiled arch=gfx906 opt=O3
	.amdgcn_target "amdgcn-amd-amdhsa--gfx906"
	.amdhsa_code_object_version 6
	.text
	.protected	_Z10insertionsPdPK13StructureAtomid ; -- Begin function _Z10insertionsPdPK13StructureAtomid
	.globl	_Z10insertionsPdPK13StructureAtomid
	.p2align	8
	.type	_Z10insertionsPdPK13StructureAtomid,@function
_Z10insertionsPdPK13StructureAtomid:    ; @_Z10insertionsPdPK13StructureAtomid
; %bb.0:
	s_load_dword s33, s[4:5], 0x10
	s_load_dwordx2 s[8:9], s[4:5], 0x0
	v_lshl_add_u32 v0, s6, 8, v0
	v_ashrrev_i32_e32 v1, 31, v0
	s_waitcnt lgkmcnt(0)
	s_cmp_lt_i32 s33, 1
	s_cbranch_scc1 .LBB0_3
; %bb.1:
	s_mov_b32 s2, 0xe48e2825
	s_mov_b32 s3, 0x26f19d38
	v_mad_u64_u32 v[2:3], s[0:1], v0, s2, 1
	v_mul_lo_u32 v4, v0, s3
	v_mul_lo_u32 v5, v1, s2
	;; [unrolled: 1-line block ×3, first 2 shown]
	s_mov_b32 s14, 0
	s_mov_b32 s16, 0x55555555
	v_add3_u32 v5, v5, v3, v4
	v_mul_lo_u32 v8, v5, s2
	v_mad_u64_u32 v[3:4], s[0:1], v2, s2, 0
	v_and_b32_e32 v5, 0x7fffffff, v5
	v_cvt_f64_u32_e32 v[5:6], v5
	v_add3_u32 v4, v4, v7, v8
	v_mov_b32_e32 v7, 0xe48e2826
	v_mov_b32_e32 v8, 0x26f19d38
	v_mul_lo_u32 v9, v4, s2
	v_mul_lo_u32 v10, v3, s3
	v_mad_u64_u32 v[7:8], s[0:1], v3, s2, v[7:8]
	v_add_co_u32_e32 v12, vcc, 1, v3
	v_addc_co_u32_e32 v3, vcc, 0, v4, vcc
	v_add3_u32 v8, v9, v8, v10
	v_and_b32_e32 v3, 0x7fffffff, v3
	v_and_b32_e32 v8, 0x7fffffff, v8
	v_cvt_f64_u32_e32 v[3:4], v3
	v_cvt_f64_u32_e32 v[8:9], v8
	v_ldexp_f64 v[5:6], v[5:6], 32
	v_cvt_f64_u32_e32 v[10:11], v2
	v_ldexp_f64 v[3:4], v[3:4], 32
	v_ldexp_f64 v[8:9], v[8:9], 32
	v_cvt_f64_u32_e32 v[12:13], v12
	v_cvt_f64_u32_e32 v[14:15], v7
	s_movk_i32 s0, 0xffc1
	s_mov_b32 s18, 0x4222de17
	v_add_f64 v[5:6], v[5:6], v[10:11]
	s_mov_b32 s20, 0x3abe935a
	v_add_f64 v[2:3], v[3:4], v[12:13]
	v_add_f64 v[7:8], v[8:9], v[14:15]
	s_mov_b32 s22, 0x47e6c9c2
	s_mov_b32 s24, 0xcfa74449
	;; [unrolled: 1-line block ×4, first 2 shown]
	v_ldexp_f64 v[4:5], v[5:6], s0
	s_mov_b32 s30, 0x924920da
	v_ldexp_f64 v[2:3], v[2:3], s0
	v_ldexp_f64 v[8:9], v[7:8], s0
	s_load_dwordx2 s[10:11], s[4:5], 0x18
	s_load_dwordx2 s[0:1], s[4:5], 0x8
	s_mov_b32 s34, 0x9999999c
	s_mov_b32 s36, 0xfefa39ef
	;; [unrolled: 1-line block ×3, first 2 shown]
	s_waitcnt lgkmcnt(0)
	v_mul_f64 v[4:5], s[10:11], v[4:5]
	v_mul_f64 v[10:11], s[10:11], 0.5
	v_mul_f64 v[6:7], s[10:11], v[2:3]
	v_mul_f64 v[8:9], s[10:11], v[8:9]
	s_add_u32 s12, s0, 16
	v_mov_b32_e32 v2, 0
	s_mov_b32 s40, 0x3b39803f
	s_mov_b32 s42, 0x3b39803f
	;; [unrolled: 1-line block ×17, first 2 shown]
	s_addc_u32 s13, s1, 0
	s_mov_b32 s78, 0
	v_mov_b32_e32 v3, 0
	s_brev_b32 s15, 8
	v_mov_b32_e32 v18, 0x260
	s_mov_b32 s17, 0x3fe55555
	s_mov_b32 s19, 0x3fbdee67
	;; [unrolled: 1-line block ×17, first 2 shown]
	s_movk_i32 s79, 0x204
	s_mov_b32 s51, 0x3ff71547
	s_mov_b32 s53, 0x3e5ade15
	s_mov_b32 s55, 0x3ec71dee
	s_mov_b32 s57, 0x3efa0199
	s_mov_b32 s59, 0x3f2a01a0
	s_mov_b32 s61, 0x3f56c16c
	s_mov_b32 s63, 0x3f811111
	s_mov_b32 s65, 0x3fa55555
	s_mov_b32 s67, 0x3fc55555
	s_mov_b32 s69, 0x3fe00000
	v_mov_b32_e32 v19, 0x100
	v_mov_b32_e32 v20, 0xffffff80
	;; [unrolled: 1-line block ×6, first 2 shown]
	s_mov_b32 s71, 0x7ff00000
	s_mov_b32 s73, 0x40900000
	s_mov_b32 s75, 0xc090cc00
	v_mov_b32_e32 v21, 0x7ff00000
.LBB0_2:                                ; =>This Inner Loop Header: Depth=1
	s_add_u32 s76, s12, -16
	s_addc_u32 s77, s13, -1
	s_load_dwordx8 s[0:7], s[76:77], 0x0
	s_add_i32 s78, s78, 1
	s_waitcnt lgkmcnt(0)
	v_add_f64 v[22:23], v[6:7], -s[2:3]
	v_add_f64 v[16:17], v[4:5], -s[0:1]
	;; [unrolled: 1-line block ×4, first 2 shown]
	v_cmp_gt_f64_e64 s[0:1], v[22:23], v[10:11]
	v_add_f64 v[26:27], v[16:17], -s[10:11]
	v_cmp_gt_f64_e32 vcc, v[16:17], v[10:11]
	v_add_f64 v[30:31], v[24:25], -s[10:11]
	v_cmp_nle_f64_e64 s[2:3], v[24:25], -v[10:11]
	v_cndmask_b32_e64 v23, v23, v29, s[0:1]
	v_cndmask_b32_e64 v22, v22, v28, s[0:1]
	v_add_f64 v[28:29], v[22:23], -s[10:11]
	v_cmp_nle_f64_e64 s[0:1], v[22:23], -v[10:11]
	v_cndmask_b32_e32 v17, v17, v27, vcc
	v_cndmask_b32_e32 v16, v16, v26, vcc
	v_add_f64 v[26:27], v[16:17], -s[10:11]
	v_cmp_gt_f64_e32 vcc, v[16:17], v[10:11]
	v_cndmask_b32_e64 v25, v31, v25, s[2:3]
	v_cndmask_b32_e64 v24, v30, v24, s[2:3]
	v_add_f64 v[30:31], v[24:25], -s[10:11]
	v_cndmask_b32_e64 v23, v29, v23, s[0:1]
	v_cndmask_b32_e64 v22, v28, v22, s[0:1]
	v_mul_f64 v[22:23], v[22:23], v[22:23]
	v_cmp_nle_f64_e64 s[2:3], v[24:25], -v[10:11]
	v_cndmask_b32_e32 v17, v17, v27, vcc
	v_cndmask_b32_e32 v16, v16, v26, vcc
	v_fma_f64 v[16:17], v[16:17], v[16:17], v[22:23]
	v_cndmask_b32_e64 v25, v31, v25, s[2:3]
	v_cndmask_b32_e64 v24, v30, v24, s[2:3]
	v_fma_f64 v[16:17], v[24:25], v[24:25], v[16:17]
	v_cmp_gt_f64_e32 vcc, s[14:15], v[16:17]
	v_cndmask_b32_e32 v22, 0, v19, vcc
	v_ldexp_f64 v[16:17], v[16:17], v22
	v_cndmask_b32_e32 v28, 0, v20, vcc
	v_rsq_f64_e32 v[22:23], v[16:17]
	v_cmp_class_f64_e32 vcc, v[16:17], v18
	v_mul_f64 v[24:25], v[16:17], v[22:23]
	v_mul_f64 v[22:23], v[22:23], 0.5
	v_fma_f64 v[26:27], -v[22:23], v[24:25], 0.5
	v_fma_f64 v[24:25], v[24:25], v[26:27], v[24:25]
	v_fma_f64 v[22:23], v[22:23], v[26:27], v[22:23]
	v_fma_f64 v[26:27], -v[24:25], v[24:25], v[16:17]
	v_fma_f64 v[24:25], v[26:27], v[22:23], v[24:25]
	v_fma_f64 v[26:27], -v[24:25], v[24:25], v[16:17]
	v_fma_f64 v[22:23], v[26:27], v[22:23], v[24:25]
	v_ldexp_f64 v[22:23], v[22:23], v28
	v_cndmask_b32_e32 v17, v23, v17, vcc
	v_cndmask_b32_e32 v16, v22, v16, vcc
	v_div_scale_f64 v[22:23], s[0:1], v[16:17], v[16:17], 1.0
	v_div_scale_f64 v[26:27], vcc, 1.0, v[16:17], 1.0
	s_load_dwordx2 s[0:1], s[12:13], 0x10
	v_rcp_f64_e32 v[24:25], v[22:23]
	v_fma_f64 v[28:29], -v[22:23], v[24:25], 1.0
	v_fma_f64 v[24:25], v[24:25], v[28:29], v[24:25]
	v_fma_f64 v[28:29], -v[22:23], v[24:25], 1.0
	v_fma_f64 v[24:25], v[24:25], v[28:29], v[24:25]
	v_mul_f64 v[28:29], v[26:27], v[24:25]
	v_fma_f64 v[22:23], -v[22:23], v[28:29], v[26:27]
	v_div_fmas_f64 v[22:23], v[22:23], v[24:25], v[28:29]
	v_div_fixup_f64 v[16:17], v[22:23], v[16:17], 1.0
	s_waitcnt lgkmcnt(0)
	v_mul_f64 v[16:17], s[0:1], v[16:17]
	v_frexp_mant_f64_e64 v[22:23], |v[16:17]|
	v_frexp_exp_i32_f64_e32 v24, v[16:17]
	v_cmp_gt_f64_e32 vcc, s[16:17], v[22:23]
	v_cndmask_b32_e64 v25, 0, 1, vcc
	v_ldexp_f64 v[22:23], v[22:23], v25
	v_subbrev_co_u32_e32 v26, vcc, 0, v24, vcc
	v_cvt_f64_i32_e32 v[26:27], v26
	v_mul_f64 v[30:31], v[26:27], s[36:37]
	v_add_f64 v[24:25], v[22:23], 1.0
	v_add_f64 v[28:29], v[22:23], -1.0
	v_fma_f64 v[36:37], v[26:27], s[36:37], -v[30:31]
	v_rcp_f64_e32 v[32:33], v[24:25]
	v_add_f64 v[34:35], v[24:25], -1.0
	v_fma_f64 v[26:27], v[26:27], s[40:41], v[36:37]
	v_add_f64 v[22:23], v[22:23], -v[34:35]
	v_add_f64 v[36:37], v[30:31], v[26:27]
	v_fma_f64 v[34:35], -v[24:25], v[32:33], 1.0
	v_add_f64 v[30:31], v[36:37], -v[30:31]
	v_fma_f64 v[32:33], v[34:35], v[32:33], v[32:33]
	v_add_f64 v[26:27], v[26:27], -v[30:31]
	v_fma_f64 v[34:35], -v[24:25], v[32:33], 1.0
	v_fma_f64 v[30:31], v[34:35], v[32:33], v[32:33]
	v_mul_f64 v[32:33], v[28:29], v[30:31]
	v_mul_f64 v[34:35], v[24:25], v[32:33]
	v_fma_f64 v[24:25], v[32:33], v[24:25], -v[34:35]
	v_fma_f64 v[22:23], v[32:33], v[22:23], v[24:25]
	v_add_f64 v[24:25], v[34:35], v[22:23]
	v_add_f64 v[38:39], v[28:29], -v[24:25]
	v_add_f64 v[34:35], v[24:25], -v[34:35]
	;; [unrolled: 1-line block ×5, first 2 shown]
	v_add_f64 v[22:23], v[22:23], v[24:25]
	v_add_f64 v[22:23], v[38:39], v[22:23]
	v_mul_f64 v[22:23], v[30:31], v[22:23]
	v_add_f64 v[24:25], v[32:33], v[22:23]
	v_add_f64 v[28:29], v[24:25], -v[32:33]
	v_mul_f64 v[30:31], v[24:25], v[24:25]
	v_ldexp_f64 v[32:33], v[24:25], 1
	v_add_f64 v[22:23], v[22:23], -v[28:29]
	v_fma_f64 v[28:29], v[24:25], v[24:25], -v[30:31]
	v_add_f64 v[34:35], v[22:23], v[22:23]
	v_ldexp_f64 v[38:39], v[22:23], 1
	v_fma_f64 v[28:29], v[24:25], v[34:35], v[28:29]
	v_add_f64 v[34:35], v[30:31], v[28:29]
	v_fma_f64 v[40:41], v[34:35], s[18:19], v[12:13]
	v_add_f64 v[30:31], v[34:35], -v[30:31]
	v_mul_f64 v[42:43], v[24:25], v[34:35]
	v_fma_f64 v[40:41], v[34:35], v[40:41], s[20:21]
	v_add_f64 v[28:29], v[28:29], -v[30:31]
	v_fma_f64 v[30:31], v[34:35], v[24:25], -v[42:43]
	v_fma_f64 v[40:41], v[34:35], v[40:41], s[22:23]
	v_fma_f64 v[22:23], v[34:35], v[22:23], v[30:31]
	;; [unrolled: 1-line block ×5, first 2 shown]
	v_add_f64 v[30:31], v[42:43], v[22:23]
	v_fma_f64 v[24:25], v[34:35], v[24:25], s[28:29]
	v_add_f64 v[40:41], v[30:31], -v[42:43]
	v_fma_f64 v[24:25], v[34:35], v[24:25], s[30:31]
	v_add_f64 v[22:23], v[22:23], -v[40:41]
	v_fma_f64 v[24:25], v[34:35], v[24:25], s[34:35]
	v_mul_f64 v[40:41], v[34:35], v[24:25]
	v_fma_f64 v[34:35], v[34:35], v[24:25], -v[40:41]
	v_fma_f64 v[24:25], v[28:29], v[24:25], v[34:35]
	v_add_f64 v[28:29], v[40:41], v[24:25]
	v_add_f64 v[34:35], v[28:29], s[16:17]
	v_add_f64 v[40:41], v[28:29], -v[40:41]
	v_add_f64 v[42:43], v[34:35], s[44:45]
	v_add_f64 v[24:25], v[24:25], -v[40:41]
	v_add_f64 v[28:29], v[28:29], -v[42:43]
	v_add_f64 v[24:25], v[24:25], s[46:47]
	v_add_f64 v[24:25], v[24:25], v[28:29]
	v_add_f64 v[28:29], v[34:35], v[24:25]
	v_add_f64 v[34:35], v[34:35], -v[28:29]
	v_mul_f64 v[40:41], v[30:31], v[28:29]
	v_add_f64 v[24:25], v[24:25], v[34:35]
	v_fma_f64 v[34:35], v[30:31], v[28:29], -v[40:41]
	v_fma_f64 v[24:25], v[30:31], v[24:25], v[34:35]
	v_fma_f64 v[22:23], v[22:23], v[28:29], v[24:25]
	v_add_f64 v[24:25], v[40:41], v[22:23]
	v_add_f64 v[28:29], v[32:33], v[24:25]
	v_add_f64 v[30:31], v[24:25], -v[40:41]
	v_add_f64 v[32:33], v[28:29], -v[32:33]
	v_add_f64 v[22:23], v[22:23], -v[30:31]
	v_add_f64 v[24:25], v[24:25], -v[32:33]
	v_add_f64 v[22:23], v[38:39], v[22:23]
	v_add_f64 v[22:23], v[22:23], v[24:25]
	;; [unrolled: 1-line block ×4, first 2 shown]
	v_add_f64 v[28:29], v[24:25], -v[28:29]
	v_add_f64 v[32:33], v[30:31], -v[36:37]
	;; [unrolled: 1-line block ×4, first 2 shown]
	v_add_f64 v[34:35], v[26:27], v[22:23]
	v_add_f64 v[24:25], v[24:25], -v[32:33]
	v_add_f64 v[28:29], v[36:37], -v[28:29]
	;; [unrolled: 1-line block ×3, first 2 shown]
	v_add_f64 v[24:25], v[24:25], v[28:29]
	v_add_f64 v[28:29], v[34:35], -v[32:33]
	v_add_f64 v[22:23], v[22:23], -v[32:33]
	v_add_f64 v[24:25], v[34:35], v[24:25]
	v_add_f64 v[26:27], v[26:27], -v[28:29]
	v_add_f64 v[28:29], v[30:31], v[24:25]
	v_add_f64 v[22:23], v[22:23], v[26:27]
	v_add_f64 v[26:27], v[28:29], -v[30:31]
	v_add_f64 v[24:25], v[24:25], -v[26:27]
	v_add_f64 v[22:23], v[22:23], v[24:25]
	v_add_f64 v[24:25], v[28:29], v[22:23]
	v_add_f64 v[26:27], v[24:25], -v[28:29]
	v_mul_f64 v[28:29], v[24:25], s[48:49]
	v_add_f64 v[22:23], v[22:23], -v[26:27]
	v_fma_f64 v[24:25], v[24:25], s[48:49], -v[28:29]
	v_cmp_class_f64_e64 vcc, v[28:29], s79
	v_fma_f64 v[22:23], v[22:23], s[48:49], v[24:25]
	v_add_f64 v[24:25], v[28:29], v[22:23]
	v_cndmask_b32_e32 v27, v25, v29, vcc
	v_cndmask_b32_e32 v26, v24, v28, vcc
	v_mul_f64 v[30:31], v[26:27], s[50:51]
	v_add_f64 v[24:25], v[24:25], -v[28:29]
	v_cmp_neq_f64_e64 vcc, |v[26:27]|, s[70:71]
	v_cmp_nlt_f64_e64 s[0:1], s[72:73], v[26:27]
	v_cmp_ngt_f64_e64 s[2:3], s[74:75], v[26:27]
	v_rndne_f64_e32 v[30:31], v[30:31]
	v_add_f64 v[22:23], v[22:23], -v[24:25]
	v_fma_f64 v[32:33], v[30:31], s[38:39], v[26:27]
	v_cvt_i32_f64_e32 v28, v[30:31]
	v_cndmask_b32_e32 v23, 0, v23, vcc
	v_cndmask_b32_e32 v22, 0, v22, vcc
	s_and_b64 vcc, s[2:3], s[0:1]
	v_fma_f64 v[32:33], v[30:31], s[42:43], v[32:33]
	v_fma_f64 v[34:35], v[32:33], s[52:53], v[14:15]
	;; [unrolled: 1-line block ×10, first 2 shown]
	v_fma_f64 v[34:35], v[32:33], v[34:35], 1.0
	v_fma_f64 v[24:25], v[32:33], v[34:35], 1.0
	v_ldexp_f64 v[24:25], v[24:25], v28
	v_cndmask_b32_e64 v25, v21, v25, s[0:1]
	v_cndmask_b32_e64 v25, 0, v25, s[2:3]
	v_cndmask_b32_e32 v24, 0, v24, vcc
	v_fma_f64 v[22:23], v[24:25], v[22:23], v[24:25]
	v_cmp_class_f64_e64 vcc, v[24:25], s79
	v_cmp_neq_f64_e64 s[0:1], |v[16:17]|, s[70:71]
	v_cmp_neq_f64_e64 s[2:3], 0, v[16:17]
	v_mul_f64 v[16:17], s[6:7], 4.0
	v_cndmask_b32_e32 v23, v23, v25, vcc
	v_and_b32_e32 v23, 0x7fffffff, v23
	v_cndmask_b32_e64 v23, v21, v23, s[0:1]
	v_cndmask_b32_e32 v22, v22, v24, vcc
	s_and_b64 vcc, s[2:3], s[0:1]
	v_cndmask_b32_e64 v23, 0, v23, s[2:3]
	v_cndmask_b32_e32 v22, 0, v22, vcc
	v_fma_f64 v[22:23], v[22:23], v[22:23], -v[22:23]
	s_add_u32 s12, s12, 40
	s_addc_u32 s13, s13, 0
	s_cmp_gt_i32 s33, s78
	v_fma_f64 v[2:3], v[16:17], v[22:23], v[2:3]
	s_cbranch_scc1 .LBB0_2
	s_branch .LBB0_4
.LBB0_3:
	v_mov_b32_e32 v2, 0
	v_mov_b32_e32 v3, 0
.LBB0_4:
	s_mov_b32 s0, 0xdd2f1aa0
	s_mov_b32 s1, 0xc0a35b24
	v_div_scale_f64 v[4:5], s[2:3], s[0:1], s[0:1], v[2:3]
	s_mov_b32 s2, 0
	s_mov_b32 s3, 0xc090cc00
	v_lshlrev_b64 v[0:1], 3, v[0:1]
	v_rcp_f64_e32 v[6:7], v[4:5]
	v_fma_f64 v[8:9], -v[4:5], v[6:7], 1.0
	v_fma_f64 v[6:7], v[6:7], v[8:9], v[6:7]
	v_div_scale_f64 v[8:9], vcc, v[2:3], s[0:1], v[2:3]
	v_fma_f64 v[10:11], -v[4:5], v[6:7], 1.0
	v_fma_f64 v[6:7], v[6:7], v[10:11], v[6:7]
	v_mul_f64 v[10:11], v[8:9], v[6:7]
	v_fma_f64 v[4:5], -v[4:5], v[10:11], v[8:9]
	v_mov_b32_e32 v8, 0xfca7ab0c
	v_mov_b32_e32 v9, 0x3e928af3
	v_div_fmas_f64 v[4:5], v[4:5], v[6:7], v[10:11]
	v_div_fixup_f64 v[2:3], v[4:5], s[0:1], v[2:3]
	s_mov_b32 s0, 0x652b82fe
	s_mov_b32 s1, 0x3ff71547
	v_mul_f64 v[4:5], v[2:3], s[0:1]
	s_mov_b32 s0, 0xfefa39ef
	s_mov_b32 s1, 0xbfe62e42
	v_rndne_f64_e32 v[4:5], v[4:5]
	v_fma_f64 v[6:7], v[4:5], s[0:1], v[2:3]
	s_mov_b32 s0, 0x3b39803f
	s_mov_b32 s1, 0xbc7abc9e
	v_fma_f64 v[6:7], v[4:5], s[0:1], v[6:7]
	s_mov_b32 s0, 0x6a5dcb37
	s_mov_b32 s1, 0x3e5ade15
	v_cvt_i32_f64_e32 v4, v[4:5]
	v_fma_f64 v[8:9], v[6:7], s[0:1], v[8:9]
	s_mov_b32 s0, 0x623fde64
	s_mov_b32 s1, 0x3ec71dee
	v_fma_f64 v[8:9], v[6:7], v[8:9], s[0:1]
	s_mov_b32 s0, 0x7c89e6b0
	s_mov_b32 s1, 0x3efa0199
	;; [unrolled: 3-line block ×9, first 2 shown]
	v_cmp_nlt_f64_e32 vcc, s[0:1], v[2:3]
	v_cmp_ngt_f64_e64 s[0:1], s[2:3], v[2:3]
	v_fma_f64 v[8:9], v[6:7], v[8:9], 1.0
	v_fma_f64 v[6:7], v[6:7], v[8:9], 1.0
	v_ldexp_f64 v[4:5], v[6:7], v4
	v_mov_b32_e32 v6, 0x7ff00000
	v_cndmask_b32_e32 v5, v6, v5, vcc
	s_and_b64 vcc, s[0:1], vcc
	v_mov_b32_e32 v6, s9
	v_cndmask_b32_e32 v2, 0, v4, vcc
	v_add_co_u32_e32 v0, vcc, s8, v0
	v_cndmask_b32_e64 v3, 0, v5, s[0:1]
	v_addc_co_u32_e32 v1, vcc, v6, v1, vcc
	global_store_dwordx2 v[0:1], v[2:3], off
	s_endpgm
	.section	.rodata,"a",@progbits
	.p2align	6, 0x0
	.amdhsa_kernel _Z10insertionsPdPK13StructureAtomid
		.amdhsa_group_segment_fixed_size 0
		.amdhsa_private_segment_fixed_size 0
		.amdhsa_kernarg_size 32
		.amdhsa_user_sgpr_count 6
		.amdhsa_user_sgpr_private_segment_buffer 1
		.amdhsa_user_sgpr_dispatch_ptr 0
		.amdhsa_user_sgpr_queue_ptr 0
		.amdhsa_user_sgpr_kernarg_segment_ptr 1
		.amdhsa_user_sgpr_dispatch_id 0
		.amdhsa_user_sgpr_flat_scratch_init 0
		.amdhsa_user_sgpr_private_segment_size 0
		.amdhsa_uses_dynamic_stack 0
		.amdhsa_system_sgpr_private_segment_wavefront_offset 0
		.amdhsa_system_sgpr_workgroup_id_x 1
		.amdhsa_system_sgpr_workgroup_id_y 0
		.amdhsa_system_sgpr_workgroup_id_z 0
		.amdhsa_system_sgpr_workgroup_info 0
		.amdhsa_system_vgpr_workitem_id 0
		.amdhsa_next_free_vgpr 44
		.amdhsa_next_free_sgpr 80
		.amdhsa_reserve_vcc 1
		.amdhsa_reserve_flat_scratch 0
		.amdhsa_float_round_mode_32 0
		.amdhsa_float_round_mode_16_64 0
		.amdhsa_float_denorm_mode_32 3
		.amdhsa_float_denorm_mode_16_64 3
		.amdhsa_dx10_clamp 1
		.amdhsa_ieee_mode 1
		.amdhsa_fp16_overflow 0
		.amdhsa_exception_fp_ieee_invalid_op 0
		.amdhsa_exception_fp_denorm_src 0
		.amdhsa_exception_fp_ieee_div_zero 0
		.amdhsa_exception_fp_ieee_overflow 0
		.amdhsa_exception_fp_ieee_underflow 0
		.amdhsa_exception_fp_ieee_inexact 0
		.amdhsa_exception_int_div_zero 0
	.end_amdhsa_kernel
	.text
.Lfunc_end0:
	.size	_Z10insertionsPdPK13StructureAtomid, .Lfunc_end0-_Z10insertionsPdPK13StructureAtomid
                                        ; -- End function
	.set _Z10insertionsPdPK13StructureAtomid.num_vgpr, 44
	.set _Z10insertionsPdPK13StructureAtomid.num_agpr, 0
	.set _Z10insertionsPdPK13StructureAtomid.numbered_sgpr, 80
	.set _Z10insertionsPdPK13StructureAtomid.num_named_barrier, 0
	.set _Z10insertionsPdPK13StructureAtomid.private_seg_size, 0
	.set _Z10insertionsPdPK13StructureAtomid.uses_vcc, 1
	.set _Z10insertionsPdPK13StructureAtomid.uses_flat_scratch, 0
	.set _Z10insertionsPdPK13StructureAtomid.has_dyn_sized_stack, 0
	.set _Z10insertionsPdPK13StructureAtomid.has_recursion, 0
	.set _Z10insertionsPdPK13StructureAtomid.has_indirect_call, 0
	.section	.AMDGPU.csdata,"",@progbits
; Kernel info:
; codeLenInByte = 3116
; TotalNumSgprs: 84
; NumVgprs: 44
; ScratchSize: 0
; MemoryBound: 0
; FloatMode: 240
; IeeeMode: 1
; LDSByteSize: 0 bytes/workgroup (compile time only)
; SGPRBlocks: 10
; VGPRBlocks: 10
; NumSGPRsForWavesPerEU: 84
; NumVGPRsForWavesPerEU: 44
; Occupancy: 5
; WaveLimiterHint : 0
; COMPUTE_PGM_RSRC2:SCRATCH_EN: 0
; COMPUTE_PGM_RSRC2:USER_SGPR: 6
; COMPUTE_PGM_RSRC2:TRAP_HANDLER: 0
; COMPUTE_PGM_RSRC2:TGID_X_EN: 1
; COMPUTE_PGM_RSRC2:TGID_Y_EN: 0
; COMPUTE_PGM_RSRC2:TGID_Z_EN: 0
; COMPUTE_PGM_RSRC2:TIDIG_COMP_CNT: 0
	.section	.AMDGPU.gpr_maximums,"",@progbits
	.set amdgpu.max_num_vgpr, 0
	.set amdgpu.max_num_agpr, 0
	.set amdgpu.max_num_sgpr, 0
	.section	.AMDGPU.csdata,"",@progbits
	.type	__hip_cuid_d3fbead7bf1a7f8a,@object ; @__hip_cuid_d3fbead7bf1a7f8a
	.section	.bss,"aw",@nobits
	.globl	__hip_cuid_d3fbead7bf1a7f8a
__hip_cuid_d3fbead7bf1a7f8a:
	.byte	0                               ; 0x0
	.size	__hip_cuid_d3fbead7bf1a7f8a, 1

	.ident	"AMD clang version 22.0.0git (https://github.com/RadeonOpenCompute/llvm-project roc-7.2.4 26084 f58b06dce1f9c15707c5f808fd002e18c2accf7e)"
	.section	".note.GNU-stack","",@progbits
	.addrsig
	.addrsig_sym __hip_cuid_d3fbead7bf1a7f8a
	.amdgpu_metadata
---
amdhsa.kernels:
  - .args:
      - .actual_access:  write_only
        .address_space:  global
        .offset:         0
        .size:           8
        .value_kind:     global_buffer
      - .actual_access:  read_only
        .address_space:  global
        .offset:         8
        .size:           8
        .value_kind:     global_buffer
      - .offset:         16
        .size:           4
        .value_kind:     by_value
      - .offset:         24
        .size:           8
        .value_kind:     by_value
    .group_segment_fixed_size: 0
    .kernarg_segment_align: 8
    .kernarg_segment_size: 32
    .language:       OpenCL C
    .language_version:
      - 2
      - 0
    .max_flat_workgroup_size: 1024
    .name:           _Z10insertionsPdPK13StructureAtomid
    .private_segment_fixed_size: 0
    .sgpr_count:     84
    .sgpr_spill_count: 0
    .symbol:         _Z10insertionsPdPK13StructureAtomid.kd
    .uniform_work_group_size: 1
    .uses_dynamic_stack: false
    .vgpr_count:     44
    .vgpr_spill_count: 0
    .wavefront_size: 64
amdhsa.target:   amdgcn-amd-amdhsa--gfx906
amdhsa.version:
  - 1
  - 2
...

	.end_amdgpu_metadata
